;; amdgpu-corpus repo=ROCm/rocFFT kind=compiled arch=gfx1201 opt=O3
	.text
	.amdgcn_target "amdgcn-amd-amdhsa--gfx1201"
	.amdhsa_code_object_version 6
	.protected	fft_rtc_back_len1470_factors_2_3_5_7_7_wgs_210_tpt_210_halfLds_half_op_CI_CI_sbrr_dirReg ; -- Begin function fft_rtc_back_len1470_factors_2_3_5_7_7_wgs_210_tpt_210_halfLds_half_op_CI_CI_sbrr_dirReg
	.globl	fft_rtc_back_len1470_factors_2_3_5_7_7_wgs_210_tpt_210_halfLds_half_op_CI_CI_sbrr_dirReg
	.p2align	8
	.type	fft_rtc_back_len1470_factors_2_3_5_7_7_wgs_210_tpt_210_halfLds_half_op_CI_CI_sbrr_dirReg,@function
fft_rtc_back_len1470_factors_2_3_5_7_7_wgs_210_tpt_210_halfLds_half_op_CI_CI_sbrr_dirReg: ; @fft_rtc_back_len1470_factors_2_3_5_7_7_wgs_210_tpt_210_halfLds_half_op_CI_CI_sbrr_dirReg
; %bb.0:
	s_clause 0x2
	s_load_b128 s[12:15], s[0:1], 0x18
	s_load_b128 s[8:11], s[0:1], 0x0
	;; [unrolled: 1-line block ×3, first 2 shown]
	v_mul_u32_u24_e32 v1, 0x139, v0
	v_mov_b32_e32 v7, 0
	v_mov_b32_e32 v5, 0
	;; [unrolled: 1-line block ×3, first 2 shown]
	s_wait_kmcnt 0x0
	s_load_b64 s[18:19], s[12:13], 0x0
	s_load_b64 s[16:17], s[14:15], 0x0
	v_lshrrev_b32_e32 v1, 16, v1
	v_cmp_lt_u64_e64 s2, s[10:11], 2
	s_delay_alu instid0(VALU_DEP_2) | instskip(NEXT) | instid1(VALU_DEP_2)
	v_dual_mov_b32 v10, v7 :: v_dual_add_nc_u32 v9, ttmp9, v1
	s_and_b32 vcc_lo, exec_lo, s2
	s_cbranch_vccnz .LBB0_8
; %bb.1:
	s_load_b64 s[2:3], s[0:1], 0x10
	v_mov_b32_e32 v5, 0
	v_mov_b32_e32 v6, 0
	s_delay_alu instid0(VALU_DEP_2)
	v_mov_b32_e32 v1, v5
	s_add_nc_u64 s[20:21], s[14:15], 8
	s_add_nc_u64 s[22:23], s[12:13], 8
	s_mov_b64 s[24:25], 1
	v_mov_b32_e32 v2, v6
	s_wait_kmcnt 0x0
	s_add_nc_u64 s[26:27], s[2:3], 8
	s_mov_b32 s3, 0
.LBB0_2:                                ; =>This Inner Loop Header: Depth=1
	s_load_b64 s[28:29], s[26:27], 0x0
                                        ; implicit-def: $vgpr3_vgpr4
	s_mov_b32 s2, exec_lo
	s_wait_kmcnt 0x0
	v_or_b32_e32 v8, s29, v10
	s_delay_alu instid0(VALU_DEP_1)
	v_cmpx_ne_u64_e32 0, v[7:8]
	s_wait_alu 0xfffe
	s_xor_b32 s30, exec_lo, s2
	s_cbranch_execz .LBB0_4
; %bb.3:                                ;   in Loop: Header=BB0_2 Depth=1
	s_cvt_f32_u32 s2, s28
	s_cvt_f32_u32 s31, s29
	s_sub_nc_u64 s[36:37], 0, s[28:29]
	s_wait_alu 0xfffe
	s_delay_alu instid0(SALU_CYCLE_1) | instskip(SKIP_1) | instid1(SALU_CYCLE_2)
	s_fmamk_f32 s2, s31, 0x4f800000, s2
	s_wait_alu 0xfffe
	v_s_rcp_f32 s2, s2
	s_delay_alu instid0(TRANS32_DEP_1) | instskip(SKIP_1) | instid1(SALU_CYCLE_2)
	s_mul_f32 s2, s2, 0x5f7ffffc
	s_wait_alu 0xfffe
	s_mul_f32 s31, s2, 0x2f800000
	s_wait_alu 0xfffe
	s_delay_alu instid0(SALU_CYCLE_2) | instskip(SKIP_1) | instid1(SALU_CYCLE_2)
	s_trunc_f32 s31, s31
	s_wait_alu 0xfffe
	s_fmamk_f32 s2, s31, 0xcf800000, s2
	s_cvt_u32_f32 s35, s31
	s_wait_alu 0xfffe
	s_delay_alu instid0(SALU_CYCLE_1) | instskip(SKIP_1) | instid1(SALU_CYCLE_2)
	s_cvt_u32_f32 s34, s2
	s_wait_alu 0xfffe
	s_mul_u64 s[38:39], s[36:37], s[34:35]
	s_wait_alu 0xfffe
	s_mul_hi_u32 s41, s34, s39
	s_mul_i32 s40, s34, s39
	s_mul_hi_u32 s2, s34, s38
	s_mul_i32 s33, s35, s38
	s_wait_alu 0xfffe
	s_add_nc_u64 s[40:41], s[2:3], s[40:41]
	s_mul_hi_u32 s31, s35, s38
	s_mul_hi_u32 s42, s35, s39
	s_add_co_u32 s2, s40, s33
	s_wait_alu 0xfffe
	s_add_co_ci_u32 s2, s41, s31
	s_mul_i32 s38, s35, s39
	s_add_co_ci_u32 s39, s42, 0
	s_wait_alu 0xfffe
	s_add_nc_u64 s[38:39], s[2:3], s[38:39]
	s_wait_alu 0xfffe
	v_add_co_u32 v3, s2, s34, s38
	s_delay_alu instid0(VALU_DEP_1) | instskip(SKIP_1) | instid1(VALU_DEP_1)
	s_cmp_lg_u32 s2, 0
	s_add_co_ci_u32 s35, s35, s39
	v_readfirstlane_b32 s34, v3
	s_wait_alu 0xfffe
	s_delay_alu instid0(VALU_DEP_1)
	s_mul_u64 s[36:37], s[36:37], s[34:35]
	s_wait_alu 0xfffe
	s_mul_hi_u32 s39, s34, s37
	s_mul_i32 s38, s34, s37
	s_mul_hi_u32 s2, s34, s36
	s_mul_i32 s33, s35, s36
	s_wait_alu 0xfffe
	s_add_nc_u64 s[38:39], s[2:3], s[38:39]
	s_mul_hi_u32 s31, s35, s36
	s_mul_hi_u32 s34, s35, s37
	s_wait_alu 0xfffe
	s_add_co_u32 s2, s38, s33
	s_add_co_ci_u32 s2, s39, s31
	s_mul_i32 s36, s35, s37
	s_add_co_ci_u32 s37, s34, 0
	s_wait_alu 0xfffe
	s_add_nc_u64 s[36:37], s[2:3], s[36:37]
	s_wait_alu 0xfffe
	v_add_co_u32 v8, s2, v3, s36
	s_delay_alu instid0(VALU_DEP_1) | instskip(SKIP_1) | instid1(VALU_DEP_1)
	s_cmp_lg_u32 s2, 0
	s_add_co_ci_u32 s2, s35, s37
	v_mul_hi_u32 v15, v9, v8
	s_wait_alu 0xfffe
	v_mad_co_u64_u32 v[3:4], null, v9, s2, 0
	v_mad_co_u64_u32 v[11:12], null, v10, v8, 0
	;; [unrolled: 1-line block ×3, first 2 shown]
	s_delay_alu instid0(VALU_DEP_3) | instskip(SKIP_1) | instid1(VALU_DEP_4)
	v_add_co_u32 v3, vcc_lo, v15, v3
	s_wait_alu 0xfffd
	v_add_co_ci_u32_e32 v4, vcc_lo, 0, v4, vcc_lo
	s_delay_alu instid0(VALU_DEP_2) | instskip(SKIP_1) | instid1(VALU_DEP_2)
	v_add_co_u32 v3, vcc_lo, v3, v11
	s_wait_alu 0xfffd
	v_add_co_ci_u32_e32 v3, vcc_lo, v4, v12, vcc_lo
	s_wait_alu 0xfffd
	v_add_co_ci_u32_e32 v4, vcc_lo, 0, v14, vcc_lo
	s_delay_alu instid0(VALU_DEP_2) | instskip(SKIP_1) | instid1(VALU_DEP_2)
	v_add_co_u32 v8, vcc_lo, v3, v13
	s_wait_alu 0xfffd
	v_add_co_ci_u32_e32 v11, vcc_lo, 0, v4, vcc_lo
	s_delay_alu instid0(VALU_DEP_2) | instskip(SKIP_1) | instid1(VALU_DEP_3)
	v_mul_lo_u32 v12, s29, v8
	v_mad_co_u64_u32 v[3:4], null, s28, v8, 0
	v_mul_lo_u32 v13, s28, v11
	s_delay_alu instid0(VALU_DEP_2) | instskip(NEXT) | instid1(VALU_DEP_2)
	v_sub_co_u32 v3, vcc_lo, v9, v3
	v_add3_u32 v4, v4, v13, v12
	s_delay_alu instid0(VALU_DEP_1) | instskip(SKIP_1) | instid1(VALU_DEP_1)
	v_sub_nc_u32_e32 v12, v10, v4
	s_wait_alu 0xfffd
	v_subrev_co_ci_u32_e64 v12, s2, s29, v12, vcc_lo
	v_add_co_u32 v13, s2, v8, 2
	s_wait_alu 0xf1ff
	v_add_co_ci_u32_e64 v14, s2, 0, v11, s2
	v_sub_co_u32 v15, s2, v3, s28
	v_sub_co_ci_u32_e32 v4, vcc_lo, v10, v4, vcc_lo
	s_wait_alu 0xf1ff
	v_subrev_co_ci_u32_e64 v12, s2, 0, v12, s2
	s_delay_alu instid0(VALU_DEP_3) | instskip(NEXT) | instid1(VALU_DEP_3)
	v_cmp_le_u32_e32 vcc_lo, s28, v15
	v_cmp_eq_u32_e64 s2, s29, v4
	s_wait_alu 0xfffd
	v_cndmask_b32_e64 v15, 0, -1, vcc_lo
	v_cmp_le_u32_e32 vcc_lo, s29, v12
	s_wait_alu 0xfffd
	v_cndmask_b32_e64 v16, 0, -1, vcc_lo
	v_cmp_le_u32_e32 vcc_lo, s28, v3
	;; [unrolled: 3-line block ×3, first 2 shown]
	s_wait_alu 0xfffd
	v_cndmask_b32_e64 v17, 0, -1, vcc_lo
	v_cmp_eq_u32_e32 vcc_lo, s29, v12
	s_wait_alu 0xf1ff
	s_delay_alu instid0(VALU_DEP_2)
	v_cndmask_b32_e64 v3, v17, v3, s2
	s_wait_alu 0xfffd
	v_cndmask_b32_e32 v12, v16, v15, vcc_lo
	v_add_co_u32 v15, vcc_lo, v8, 1
	s_wait_alu 0xfffd
	v_add_co_ci_u32_e32 v16, vcc_lo, 0, v11, vcc_lo
	s_delay_alu instid0(VALU_DEP_3) | instskip(SKIP_1) | instid1(VALU_DEP_2)
	v_cmp_ne_u32_e32 vcc_lo, 0, v12
	s_wait_alu 0xfffd
	v_cndmask_b32_e32 v4, v16, v14, vcc_lo
	v_cndmask_b32_e32 v12, v15, v13, vcc_lo
	v_cmp_ne_u32_e32 vcc_lo, 0, v3
	s_wait_alu 0xfffd
	s_delay_alu instid0(VALU_DEP_3) | instskip(NEXT) | instid1(VALU_DEP_3)
	v_cndmask_b32_e32 v4, v11, v4, vcc_lo
	v_cndmask_b32_e32 v3, v8, v12, vcc_lo
.LBB0_4:                                ;   in Loop: Header=BB0_2 Depth=1
	s_wait_alu 0xfffe
	s_and_not1_saveexec_b32 s2, s30
	s_cbranch_execz .LBB0_6
; %bb.5:                                ;   in Loop: Header=BB0_2 Depth=1
	v_cvt_f32_u32_e32 v3, s28
	s_sub_co_i32 s30, 0, s28
	s_delay_alu instid0(VALU_DEP_1) | instskip(NEXT) | instid1(TRANS32_DEP_1)
	v_rcp_iflag_f32_e32 v3, v3
	v_mul_f32_e32 v3, 0x4f7ffffe, v3
	s_delay_alu instid0(VALU_DEP_1) | instskip(SKIP_1) | instid1(VALU_DEP_1)
	v_cvt_u32_f32_e32 v3, v3
	s_wait_alu 0xfffe
	v_mul_lo_u32 v4, s30, v3
	s_delay_alu instid0(VALU_DEP_1) | instskip(NEXT) | instid1(VALU_DEP_1)
	v_mul_hi_u32 v4, v3, v4
	v_add_nc_u32_e32 v3, v3, v4
	s_delay_alu instid0(VALU_DEP_1) | instskip(NEXT) | instid1(VALU_DEP_1)
	v_mul_hi_u32 v3, v9, v3
	v_mul_lo_u32 v4, v3, s28
	v_add_nc_u32_e32 v8, 1, v3
	s_delay_alu instid0(VALU_DEP_2) | instskip(NEXT) | instid1(VALU_DEP_1)
	v_sub_nc_u32_e32 v4, v9, v4
	v_subrev_nc_u32_e32 v11, s28, v4
	v_cmp_le_u32_e32 vcc_lo, s28, v4
	s_wait_alu 0xfffd
	s_delay_alu instid0(VALU_DEP_2) | instskip(NEXT) | instid1(VALU_DEP_1)
	v_dual_cndmask_b32 v4, v4, v11 :: v_dual_cndmask_b32 v3, v3, v8
	v_cmp_le_u32_e32 vcc_lo, s28, v4
	s_delay_alu instid0(VALU_DEP_2) | instskip(SKIP_2) | instid1(VALU_DEP_2)
	v_add_nc_u32_e32 v8, 1, v3
	v_mov_b32_e32 v4, v7
	s_wait_alu 0xfffd
	v_cndmask_b32_e32 v3, v3, v8, vcc_lo
.LBB0_6:                                ;   in Loop: Header=BB0_2 Depth=1
	s_wait_alu 0xfffe
	s_or_b32 exec_lo, exec_lo, s2
	v_mul_lo_u32 v8, v4, s28
	s_delay_alu instid0(VALU_DEP_2)
	v_mul_lo_u32 v13, v3, s29
	s_load_b64 s[30:31], s[22:23], 0x0
	v_mad_co_u64_u32 v[11:12], null, v3, s28, 0
	s_load_b64 s[28:29], s[20:21], 0x0
	s_add_nc_u64 s[24:25], s[24:25], 1
	s_add_nc_u64 s[20:21], s[20:21], 8
	s_wait_alu 0xfffe
	v_cmp_ge_u64_e64 s2, s[24:25], s[10:11]
	s_add_nc_u64 s[22:23], s[22:23], 8
	s_add_nc_u64 s[26:27], s[26:27], 8
	v_add3_u32 v8, v12, v13, v8
	v_sub_co_u32 v9, vcc_lo, v9, v11
	s_wait_alu 0xfffd
	s_delay_alu instid0(VALU_DEP_2) | instskip(SKIP_2) | instid1(VALU_DEP_1)
	v_sub_co_ci_u32_e32 v8, vcc_lo, v10, v8, vcc_lo
	s_and_b32 vcc_lo, exec_lo, s2
	s_wait_kmcnt 0x0
	v_mul_lo_u32 v10, s30, v8
	v_mul_lo_u32 v11, s31, v9
	v_mad_co_u64_u32 v[5:6], null, s30, v9, v[5:6]
	v_mul_lo_u32 v8, s28, v8
	v_mul_lo_u32 v12, s29, v9
	v_mad_co_u64_u32 v[1:2], null, s28, v9, v[1:2]
	s_delay_alu instid0(VALU_DEP_4) | instskip(NEXT) | instid1(VALU_DEP_2)
	v_add3_u32 v6, v11, v6, v10
	v_add3_u32 v2, v12, v2, v8
	s_wait_alu 0xfffe
	s_cbranch_vccnz .LBB0_9
; %bb.7:                                ;   in Loop: Header=BB0_2 Depth=1
	v_dual_mov_b32 v10, v4 :: v_dual_mov_b32 v9, v3
	s_branch .LBB0_2
.LBB0_8:
	v_dual_mov_b32 v1, v5 :: v_dual_mov_b32 v2, v6
	s_delay_alu instid0(VALU_DEP_2)
	v_dual_mov_b32 v3, v9 :: v_dual_mov_b32 v4, v10
.LBB0_9:
	s_load_b64 s[0:1], s[0:1], 0x28
	v_mul_hi_u32 v22, 0x1381382, v0
	s_lshl_b64 s[10:11], s[10:11], 3
                                        ; implicit-def: $vgpr7
                                        ; implicit-def: $vgpr10
                                        ; implicit-def: $vgpr9
	s_wait_alu 0xfffe
	s_add_nc_u64 s[2:3], s[14:15], s[10:11]
                                        ; implicit-def: $sgpr14
                                        ; implicit-def: $sgpr15
	s_wait_kmcnt 0x0
	v_cmp_gt_u64_e32 vcc_lo, s[0:1], v[3:4]
	v_cmp_le_u64_e64 s0, s[0:1], v[3:4]
	s_delay_alu instid0(VALU_DEP_1)
	s_and_saveexec_b32 s1, s0
	s_wait_alu 0xfffe
	s_xor_b32 s0, exec_lo, s1
; %bb.10:
	v_mul_u32_u24_e32 v5, 0xd2, v22
	s_mov_b32 s15, 0
	s_mov_b32 s14, 0
                                        ; implicit-def: $vgpr22
	s_delay_alu instid0(VALU_DEP_1) | instskip(NEXT) | instid1(VALU_DEP_1)
	v_sub_nc_u32_e32 v7, v0, v5
                                        ; implicit-def: $vgpr0
                                        ; implicit-def: $vgpr5_vgpr6
	v_add_nc_u32_e32 v10, 0xd2, v7
	v_add_nc_u32_e32 v9, 0x1a4, v7
; %bb.11:
	s_wait_alu 0xfffe
	s_or_saveexec_b32 s1, s0
	s_load_b64 s[2:3], s[2:3], 0x0
	v_dual_mov_b32 v13, s15 :: v_dual_mov_b32 v8, s14
	v_mov_b32_e32 v20, s15
                                        ; implicit-def: $vgpr19
                                        ; implicit-def: $vgpr11
                                        ; implicit-def: $vgpr23
                                        ; implicit-def: $vgpr15
                                        ; implicit-def: $vgpr24
                                        ; implicit-def: $vgpr12
                                        ; implicit-def: $vgpr26
                                        ; implicit-def: $vgpr17
                                        ; implicit-def: $vgpr25
                                        ; implicit-def: $vgpr16
                                        ; implicit-def: $vgpr27
                                        ; implicit-def: $vgpr18
                                        ; implicit-def: $vgpr14
                                        ; implicit-def: $vgpr21
	s_xor_b32 exec_lo, exec_lo, s1
	s_cbranch_execz .LBB0_15
; %bb.12:
	s_add_nc_u64 s[10:11], s[12:13], s[10:11]
	v_mul_u32_u24_e32 v7, 0xd2, v22
	s_load_b64 s[10:11], s[10:11], 0x0
	v_lshlrev_b64_e32 v[5:6], 2, v[5:6]
	s_delay_alu instid0(VALU_DEP_2) | instskip(NEXT) | instid1(VALU_DEP_1)
	v_sub_nc_u32_e32 v7, v0, v7
	v_mad_co_u64_u32 v[11:12], null, s18, v7, 0
	v_add_nc_u32_e32 v9, 0x1a4, v7
	v_add_nc_u32_e32 v24, 0x2df, v7
	;; [unrolled: 1-line block ×4, first 2 shown]
	s_delay_alu instid0(VALU_DEP_3)
	v_mad_co_u64_u32 v[13:14], null, s18, v24, 0
	v_mov_b32_e32 v0, v12
	s_wait_kmcnt 0x0
	v_mul_lo_u32 v8, s11, v3
	v_mul_lo_u32 v12, s10, v4
	v_mad_co_u64_u32 v[17:18], null, s10, v3, 0
	v_mad_co_u64_u32 v[15:16], null, s18, v10, 0
	;; [unrolled: 1-line block ×4, first 2 shown]
	s_delay_alu instid0(VALU_DEP_4) | instskip(SKIP_3) | instid1(VALU_DEP_4)
	v_add3_u32 v18, v18, v12, v8
	v_dual_mov_b32 v0, v14 :: v_dual_add_nc_u32 v27, 0x483, v7
	v_mov_b32_e32 v8, v16
	v_mad_co_u64_u32 v[22:23], null, s18, v9, 0
	v_lshlrev_b64_e32 v[17:18], 2, v[17:18]
	v_mov_b32_e32 v16, v20
	v_mov_b32_e32 v12, v21
	v_mad_co_u64_u32 v[20:21], null, s19, v24, v[0:1]
	v_mad_co_u64_u32 v[24:25], null, s19, v10, v[8:9]
	v_add_co_u32 v0, s0, s4, v17
	s_wait_alu 0xf1ff
	v_add_co_ci_u32_e64 v8, s0, s5, v18, s0
	v_mad_co_u64_u32 v[17:18], null, s19, v26, v[16:17]
	s_delay_alu instid0(VALU_DEP_3) | instskip(SKIP_1) | instid1(VALU_DEP_3)
	v_add_co_u32 v0, s0, v0, v5
	s_wait_alu 0xf1ff
	v_add_co_ci_u32_e64 v5, s0, v8, v6, s0
	v_mad_co_u64_u32 v[25:26], null, s18, v27, 0
	v_mov_b32_e32 v6, v23
	v_mov_b32_e32 v14, v20
	v_lshlrev_b64_e32 v[11:12], 2, v[11:12]
	v_mov_b32_e32 v16, v24
	v_mov_b32_e32 v20, v17
	v_mad_co_u64_u32 v[17:18], null, s19, v9, v[6:7]
	v_lshlrev_b64_e32 v[13:14], 2, v[13:14]
	v_mov_b32_e32 v6, v26
	v_add_co_u32 v11, s0, v0, v11
	v_lshlrev_b64_e32 v[15:16], 2, v[15:16]
	s_wait_alu 0xf1ff
	v_add_co_ci_u32_e64 v12, s0, v5, v12, s0
	v_add_co_u32 v13, s0, v0, v13
	v_mad_co_u64_u32 v[26:27], null, s19, v27, v[6:7]
	v_mov_b32_e32 v23, v17
	s_wait_alu 0xf1ff
	v_add_co_ci_u32_e64 v14, s0, v5, v14, s0
	v_lshlrev_b64_e32 v[18:19], 2, v[19:20]
	v_add_co_u32 v20, s0, v0, v15
	s_wait_alu 0xf1ff
	v_add_co_ci_u32_e64 v21, s0, v5, v16, s0
	v_lshlrev_b64_e32 v[15:16], 2, v[22:23]
	s_delay_alu instid0(VALU_DEP_4) | instskip(SKIP_3) | instid1(VALU_DEP_4)
	v_add_co_u32 v17, s0, v0, v18
	v_lshlrev_b64_e32 v[22:23], 2, v[25:26]
	s_wait_alu 0xf1ff
	v_add_co_ci_u32_e64 v18, s0, v5, v19, s0
	v_add_co_u32 v24, s0, v0, v15
	s_wait_alu 0xf1ff
	v_add_co_ci_u32_e64 v25, s0, v5, v16, s0
	v_add_co_u32 v22, s0, v0, v22
	s_wait_alu 0xf1ff
	v_add_co_ci_u32_e64 v23, s0, v5, v23, s0
	s_clause 0x5
	global_load_b32 v11, v[11:12], off
	global_load_b32 v15, v[13:14], off
	;; [unrolled: 1-line block ×6, first 2 shown]
	v_dual_mov_b32 v20, 0 :: v_dual_mov_b32 v13, 0
	s_mov_b32 s4, exec_lo
                                        ; implicit-def: $vgpr21
                                        ; implicit-def: $vgpr14
	v_cmpx_gt_u32_e32 0x69, v7
	s_cbranch_execz .LBB0_14
; %bb.13:
	v_add_nc_u32_e32 v21, 0x276, v7
	v_add_nc_u32_e32 v22, 0x555, v7
	s_delay_alu instid0(VALU_DEP_2) | instskip(NEXT) | instid1(VALU_DEP_2)
	v_mad_co_u64_u32 v[13:14], null, s18, v21, 0
	v_mad_co_u64_u32 v[19:20], null, s18, v22, 0
	s_delay_alu instid0(VALU_DEP_2) | instskip(NEXT) | instid1(VALU_DEP_2)
	v_mov_b32_e32 v6, v14
	v_mov_b32_e32 v8, v20
	s_delay_alu instid0(VALU_DEP_2) | instskip(NEXT) | instid1(VALU_DEP_2)
	v_mad_co_u64_u32 v[20:21], null, s19, v21, v[6:7]
	v_mad_co_u64_u32 v[21:22], null, s19, v22, v[8:9]
	s_delay_alu instid0(VALU_DEP_2) | instskip(NEXT) | instid1(VALU_DEP_2)
	v_mov_b32_e32 v14, v20
	v_mov_b32_e32 v20, v21
	s_delay_alu instid0(VALU_DEP_2) | instskip(NEXT) | instid1(VALU_DEP_2)
	v_lshlrev_b64_e32 v[13:14], 2, v[13:14]
	v_lshlrev_b64_e32 v[19:20], 2, v[19:20]
	s_delay_alu instid0(VALU_DEP_2) | instskip(SKIP_1) | instid1(VALU_DEP_3)
	v_add_co_u32 v13, s0, v0, v13
	s_wait_alu 0xf1ff
	v_add_co_ci_u32_e64 v14, s0, v5, v14, s0
	s_delay_alu instid0(VALU_DEP_3)
	v_add_co_u32 v21, s0, v0, v19
	s_wait_alu 0xf1ff
	v_add_co_ci_u32_e64 v22, s0, v5, v20, s0
	s_clause 0x1
	global_load_b32 v20, v[13:14], off
	global_load_b32 v21, v[21:22], off
	s_wait_loadcnt 0x1
	v_lshrrev_b32_e32 v13, 16, v20
	s_wait_loadcnt 0x0
	v_lshrrev_b32_e32 v14, 16, v21
.LBB0_14:
	s_wait_alu 0xfffe
	s_or_b32 exec_lo, exec_lo, s4
	s_wait_loadcnt 0x5
	v_lshrrev_b32_e32 v19, 16, v11
	s_wait_loadcnt 0x4
	v_lshrrev_b32_e32 v23, 16, v15
	;; [unrolled: 2-line block ×6, first 2 shown]
	v_mov_b32_e32 v8, v7
.LBB0_15:
	s_or_b32 exec_lo, exec_lo, s1
	v_sub_f16_e32 v5, v11, v15
	v_sub_f16_e32 v17, v12, v17
	;; [unrolled: 1-line block ×4, first 2 shown]
	v_lshlrev_b32_e32 v0, 1, v7
	v_fma_f16 v11, v11, 2.0, -v5
	v_fma_f16 v21, v12, 2.0, -v17
	;; [unrolled: 1-line block ×3, first 2 shown]
	v_add_nc_u32_e32 v20, 0x276, v7
	v_fma_f16 v16, v16, 2.0, -v18
	v_lshl_add_u32 v6, v7, 2, 0
	v_pack_b32_f16 v11, v11, v5
	v_lshlrev_b32_e32 v30, 1, v10
	v_lshl_add_u32 v5, v10, 2, 0
	v_lshlrev_b32_e32 v22, 1, v9
	v_lshl_add_u32 v29, v9, 2, 0
	v_cmp_gt_u32_e64 s0, 0x69, v7
	v_lshl_add_u32 v28, v20, 2, 0
	v_pack_b32_f16 v17, v21, v17
	v_pack_b32_f16 v16, v16, v18
	ds_store_b32 v6, v11
	ds_store_b32 v5, v17
	;; [unrolled: 1-line block ×3, first 2 shown]
	s_and_saveexec_b32 s1, s0
	s_cbranch_execz .LBB0_17
; %bb.16:
	v_perm_b32 v11, v15, v12, 0x5040100
	ds_store_b32 v28, v11
.LBB0_17:
	s_wait_alu 0xfffe
	s_or_b32 exec_lo, exec_lo, s1
	v_sub_nc_u32_e32 v20, v6, v0
	v_sub_nc_u32_e32 v11, v5, v30
	global_wb scope:SCOPE_SE
	s_wait_dscnt 0x0
	s_wait_kmcnt 0x0
	s_barrier_signal -1
	s_barrier_wait -1
	global_inv scope:SCOPE_SE
	ds_load_u16 v16, v20
	ds_load_u16 v18, v20 offset:980
	ds_load_u16 v11, v11
	ds_load_u16 v17, v20 offset:2380
	ds_load_u16 v21, v20 offset:1960
	;; [unrolled: 1-line block ×3, first 2 shown]
	v_sub_nc_u32_e32 v0, 0, v0
	v_cmp_gt_u32_e64 s1, 0x46, v7
	v_sub_nc_u32_e32 v32, v29, v22
                                        ; implicit-def: $vgpr22
	s_delay_alu instid0(VALU_DEP_3) | instskip(NEXT) | instid1(VALU_DEP_3)
	v_add_nc_u32_e32 v0, v6, v0
	s_and_saveexec_b32 s4, s1
	s_cbranch_execz .LBB0_19
; %bb.18:
	ds_load_u16 v12, v32
	ds_load_u16 v15, v0 offset:1820
	ds_load_u16 v22, v0 offset:2800
.LBB0_19:
	s_wait_alu 0xfffe
	s_or_b32 exec_lo, exec_lo, s4
	v_sub_f16_e32 v31, v19, v23
	v_sub_f16_e32 v26, v24, v26
	;; [unrolled: 1-line block ×4, first 2 shown]
	v_sub_nc_u32_e32 v14, 0, v30
	v_fma_f16 v19, v19, 2.0, -v31
	v_fma_f16 v24, v24, 2.0, -v26
	;; [unrolled: 1-line block ×4, first 2 shown]
	global_wb scope:SCOPE_SE
	s_wait_dscnt 0x0
	v_pack_b32_f16 v19, v19, v31
	v_pack_b32_f16 v24, v24, v26
	;; [unrolled: 1-line block ×3, first 2 shown]
	s_barrier_signal -1
	s_barrier_wait -1
	global_inv scope:SCOPE_SE
	ds_store_b32 v6, v19
	ds_store_b32 v5, v24
	;; [unrolled: 1-line block ×3, first 2 shown]
	s_and_saveexec_b32 s4, s0
	s_cbranch_execz .LBB0_21
; %bb.20:
	v_perm_b32 v6, v23, v13, 0x5040100
	ds_store_b32 v28, v6
.LBB0_21:
	s_wait_alu 0xfffe
	s_or_b32 exec_lo, exec_lo, s4
	v_add_nc_u32_e32 v5, v5, v14
	global_wb scope:SCOPE_SE
	s_wait_dscnt 0x0
	s_barrier_signal -1
	s_barrier_wait -1
	global_inv scope:SCOPE_SE
	ds_load_u16 v25, v0 offset:980
	ds_load_u16 v24, v0 offset:2380
	;; [unrolled: 1-line block ×4, first 2 shown]
	ds_load_u16 v14, v0
	ds_load_u16 v6, v5
                                        ; implicit-def: $vgpr31
	s_and_saveexec_b32 s0, s1
	s_cbranch_execz .LBB0_23
; %bb.22:
	ds_load_u16 v13, v32
	ds_load_u16 v23, v0 offset:1820
	ds_load_u16 v31, v0 offset:2800
.LBB0_23:
	s_wait_alu 0xfffe
	s_or_b32 exec_lo, exec_lo, s0
	v_and_b32_e32 v19, 1, v7
	v_lshrrev_b32_e32 v27, 1, v7
	s_delay_alu instid0(VALU_DEP_2) | instskip(NEXT) | instid1(VALU_DEP_2)
	v_lshlrev_b32_e32 v26, 3, v19
	v_mul_u32_u24_e32 v27, 6, v27
	global_load_b64 v[40:41], v26, s[8:9]
	v_lshrrev_b32_e32 v26, 1, v10
	v_or_b32_e32 v27, v27, v19
	global_wb scope:SCOPE_SE
	s_wait_loadcnt_dscnt 0x0
	s_barrier_signal -1
	s_barrier_wait -1
	v_mul_lo_u32 v28, v26, 6
	v_lshrrev_b32_e32 v26, 1, v9
	global_inv scope:SCOPE_SE
	v_or_b32_e32 v32, v28, v19
	v_lshl_add_u32 v28, v27, 1, 0
	s_delay_alu instid0(VALU_DEP_2) | instskip(SKIP_2) | instid1(VALU_DEP_2)
	v_lshl_add_u32 v27, v32, 1, 0
	v_lshrrev_b32_e32 v35, 16, v40
	v_lshrrev_b32_e32 v38, 16, v41
	v_mul_f16_e32 v36, v25, v35
	v_mul_f16_e32 v39, v18, v35
	s_delay_alu instid0(VALU_DEP_3)
	v_mul_f16_e32 v37, v30, v38
	v_mul_f16_e32 v32, v29, v35
	;; [unrolled: 1-line block ×10, first 2 shown]
	v_fmac_f16_e32 v36, v18, v40
	v_fmac_f16_e32 v37, v21, v41
	;; [unrolled: 1-line block ×6, first 2 shown]
	v_fma_f16 v39, v25, v40, -v39
	v_fma_f16 v30, v30, v41, -v42
	;; [unrolled: 1-line block ×6, first 2 shown]
	v_add_f16_e32 v18, v36, v37
	v_add_f16_e32 v23, v32, v34
	;; [unrolled: 1-line block ×4, first 2 shown]
	v_sub_f16_e32 v21, v39, v30
	v_add_f16_e32 v22, v11, v32
	v_sub_f16_e32 v24, v38, v20
	v_add_f16_e32 v25, v12, v33
	v_sub_f16_e32 v40, v29, v15
	v_fmac_f16_e32 v16, -0.5, v18
	v_fmac_f16_e32 v11, -0.5, v23
	;; [unrolled: 1-line block ×3, first 2 shown]
	v_add_f16_e32 v41, v17, v37
	v_add_f16_e32 v17, v25, v35
	v_fmamk_f16 v23, v21, 0xbaee, v16
	v_fmac_f16_e32 v16, 0x3aee, v21
	v_fmamk_f16 v21, v24, 0xbaee, v11
	v_fmac_f16_e32 v11, 0x3aee, v24
	;; [unrolled: 2-line block ×3, first 2 shown]
	v_add_f16_e32 v22, v22, v34
	ds_store_b16 v28, v41
	ds_store_b16 v28, v23 offset:4
	ds_store_b16 v28, v16 offset:8
	ds_store_b16 v27, v22
	ds_store_b16 v27, v21 offset:4
	ds_store_b16 v27, v11 offset:8
	s_and_saveexec_b32 s0, s1
	s_cbranch_execz .LBB0_25
; %bb.24:
	v_mul_lo_u32 v16, v26, 6
	s_delay_alu instid0(VALU_DEP_1) | instskip(NEXT) | instid1(VALU_DEP_1)
	v_or_b32_e32 v16, v16, v19
	v_lshl_add_u32 v16, v16, 1, 0
	ds_store_b16 v16, v17
	ds_store_b16 v16, v18 offset:4
	ds_store_b16 v16, v12 offset:8
.LBB0_25:
	s_wait_alu 0xfffe
	s_or_b32 exec_lo, exec_lo, s0
	global_wb scope:SCOPE_SE
	s_wait_dscnt 0x0
	s_barrier_signal -1
	s_barrier_wait -1
	global_inv scope:SCOPE_SE
	ds_load_u16 v16, v0
	ds_load_u16 v25, v0 offset:588
	ds_load_u16 v23, v0 offset:1176
	;; [unrolled: 1-line block ×4, first 2 shown]
	v_cmp_gt_u32_e64 s0, 0x54, v7
                                        ; implicit-def: $vgpr24
	s_delay_alu instid0(VALU_DEP_1)
	s_and_saveexec_b32 s4, s0
	s_cbranch_execz .LBB0_27
; %bb.26:
	ds_load_u16 v11, v5
	ds_load_u16 v17, v0 offset:1008
	ds_load_u16 v18, v0 offset:1596
	;; [unrolled: 1-line block ×4, first 2 shown]
.LBB0_27:
	s_wait_alu 0xfffe
	s_or_b32 exec_lo, exec_lo, s4
	v_add_f16_e32 v31, v39, v30
	v_add_f16_e32 v39, v14, v39
	v_sub_f16_e32 v36, v36, v37
	v_add_f16_e32 v37, v38, v20
	v_sub_f16_e32 v32, v32, v34
	v_fmac_f16_e32 v14, -0.5, v31
	v_add_f16_e32 v31, v6, v38
	v_add_f16_e32 v38, v29, v15
	v_fmac_f16_e32 v6, -0.5, v37
	v_add_f16_e32 v29, v13, v29
	v_sub_f16_e32 v33, v33, v35
	v_add_f16_e32 v30, v39, v30
	v_fmac_f16_e32 v13, -0.5, v38
	v_add_f16_e32 v20, v31, v20
	v_fmamk_f16 v34, v32, 0x3aee, v6
	v_fmac_f16_e32 v6, 0xbaee, v32
	v_add_f16_e32 v32, v29, v15
	v_fmamk_f16 v31, v33, 0x3aee, v13
	v_fmac_f16_e32 v13, 0xbaee, v33
	v_fmamk_f16 v37, v36, 0x3aee, v14
	v_fmac_f16_e32 v14, 0xbaee, v36
	global_wb scope:SCOPE_SE
	s_wait_dscnt 0x0
	s_barrier_signal -1
	s_barrier_wait -1
	global_inv scope:SCOPE_SE
	ds_store_b16 v28, v30
	ds_store_b16 v28, v37 offset:4
	ds_store_b16 v28, v14 offset:8
	ds_store_b16 v27, v20
	ds_store_b16 v27, v34 offset:4
	ds_store_b16 v27, v6 offset:8
	s_and_saveexec_b32 s4, s1
	s_cbranch_execz .LBB0_29
; %bb.28:
	v_mul_lo_u32 v14, v26, 6
	s_delay_alu instid0(VALU_DEP_1) | instskip(NEXT) | instid1(VALU_DEP_1)
	v_or_b32_e32 v14, v14, v19
	v_lshl_add_u32 v14, v14, 1, 0
	ds_store_b16 v14, v32
	ds_store_b16 v14, v31 offset:4
	ds_store_b16 v14, v13 offset:8
.LBB0_29:
	s_wait_alu 0xfffe
	s_or_b32 exec_lo, exec_lo, s4
	global_wb scope:SCOPE_SE
	s_wait_dscnt 0x0
	s_barrier_signal -1
	s_barrier_wait -1
	global_inv scope:SCOPE_SE
	ds_load_u16 v15, v0
	ds_load_u16 v37, v0 offset:588
	ds_load_u16 v36, v0 offset:1176
	ds_load_u16 v35, v0 offset:1764
	ds_load_u16 v33, v0 offset:2352
                                        ; implicit-def: $vgpr34
	s_and_saveexec_b32 s1, s0
	s_cbranch_execz .LBB0_31
; %bb.30:
	ds_load_u16 v6, v5
	ds_load_u16 v32, v0 offset:1008
	ds_load_u16 v31, v0 offset:1596
	;; [unrolled: 1-line block ×4, first 2 shown]
.LBB0_31:
	s_wait_alu 0xfffe
	s_or_b32 exec_lo, exec_lo, s1
	v_and_b32_e32 v14, 0xff, v7
	v_and_b32_e32 v19, 0xffff, v10
	s_delay_alu instid0(VALU_DEP_2) | instskip(NEXT) | instid1(VALU_DEP_2)
	v_mul_lo_u16 v20, 0xab, v14
	v_mul_u32_u24_e32 v19, 0xaaab, v19
	s_delay_alu instid0(VALU_DEP_2) | instskip(NEXT) | instid1(VALU_DEP_2)
	v_lshrrev_b16 v20, 10, v20
	v_lshrrev_b32_e32 v19, 18, v19
	s_delay_alu instid0(VALU_DEP_2) | instskip(NEXT) | instid1(VALU_DEP_2)
	v_mul_lo_u16 v26, v20, 6
	v_mul_lo_u16 v27, v19, 6
	s_delay_alu instid0(VALU_DEP_2) | instskip(NEXT) | instid1(VALU_DEP_2)
	v_sub_nc_u16 v26, v7, v26
	v_sub_nc_u16 v10, v10, v27
	s_delay_alu instid0(VALU_DEP_2) | instskip(NEXT) | instid1(VALU_DEP_2)
	v_and_b32_e32 v26, 0xff, v26
	v_and_b32_e32 v10, 0xffff, v10
	s_delay_alu instid0(VALU_DEP_2) | instskip(NEXT) | instid1(VALU_DEP_2)
	v_lshlrev_b32_e32 v27, 4, v26
	v_lshlrev_b32_e32 v28, 4, v10
	;; [unrolled: 1-line block ×3, first 2 shown]
	s_clause 0x1
	global_load_b128 v[42:45], v27, s[8:9] offset:16
	global_load_b128 v[46:49], v28, s[8:9] offset:16
	v_and_b32_e32 v27, 0xffff, v20
	v_mul_lo_u16 v20, v19, 30
	v_lshlrev_b32_e32 v19, 1, v10
	global_wb scope:SCOPE_SE
	s_wait_loadcnt_dscnt 0x0
	s_barrier_signal -1
	v_mul_u32_u24_e32 v27, 60, v27
	s_barrier_wait -1
	global_inv scope:SCOPE_SE
	v_add3_u32 v26, 0, v27, v26
	v_lshrrev_b32_e32 v27, 16, v43
	v_lshrrev_b32_e32 v28, 16, v44
	;; [unrolled: 1-line block ×5, first 2 shown]
	v_mul_f16_e32 v39, v36, v27
	v_mul_f16_e32 v40, v35, v28
	v_lshrrev_b32_e32 v50, 16, v47
	v_mul_f16_e32 v38, v37, v10
	v_mul_f16_e32 v41, v33, v29
	v_lshrrev_b32_e32 v30, 16, v46
	v_mul_f16_e32 v10, v25, v10
	v_mul_f16_e32 v55, v21, v29
	;; [unrolled: 1-line block ×4, first 2 shown]
	v_fmac_f16_e32 v39, v23, v43
	v_fmac_f16_e32 v40, v22, v44
	v_lshrrev_b32_e32 v52, 16, v49
	v_mul_f16_e32 v53, v23, v27
	v_mul_f16_e32 v54, v22, v28
	;; [unrolled: 1-line block ×4, first 2 shown]
	v_fmac_f16_e32 v38, v25, v42
	v_fmac_f16_e32 v41, v21, v45
	v_mul_f16_e32 v27, v32, v30
	v_mul_f16_e32 v56, v17, v30
	v_fma_f16 v37, v37, v42, -v10
	v_fma_f16 v33, v33, v45, -v55
	;; [unrolled: 1-line block ×3, first 2 shown]
	v_add_f16_e32 v13, v39, v40
	v_mul_f16_e32 v30, v34, v52
	v_mul_f16_e32 v52, v24, v52
	v_fma_f16 v36, v36, v43, -v53
	v_fma_f16 v10, v35, v44, -v54
	;; [unrolled: 1-line block ×3, first 2 shown]
	v_add_f16_e32 v31, v38, v41
	v_fmac_f16_e32 v29, v12, v48
	v_add_f16_e32 v12, v16, v38
	v_fmac_f16_e32 v27, v17, v46
	v_fma_f16 v22, v32, v46, -v56
	v_sub_f16_e32 v17, v37, v33
	v_sub_f16_e32 v21, v38, v39
	v_sub_f16_e32 v32, v41, v40
	v_fma_f16 v13, -0.5, v13, v16
	v_fmac_f16_e32 v28, v18, v47
	v_fmac_f16_e32 v30, v24, v49
	v_fma_f16 v24, v34, v49, -v52
	v_sub_f16_e32 v18, v36, v10
	v_sub_f16_e32 v34, v39, v38
	;; [unrolled: 1-line block ×3, first 2 shown]
	v_fmac_f16_e32 v16, -0.5, v31
	v_add_f16_e32 v12, v12, v39
	v_add_f16_e32 v21, v21, v32
	v_fmamk_f16 v32, v17, 0xbb9c, v13
	v_add_f16_e32 v31, v34, v35
	v_fmamk_f16 v34, v18, 0x3b9c, v16
	v_fmac_f16_e32 v16, 0xbb9c, v18
	v_fmac_f16_e32 v13, 0x3b9c, v17
	v_add_f16_e32 v12, v12, v40
	v_fmac_f16_e32 v32, 0xb8b4, v18
	v_fmac_f16_e32 v34, 0xb8b4, v17
	;; [unrolled: 1-line block ×4, first 2 shown]
	v_add_f16_e32 v12, v12, v41
	v_fmac_f16_e32 v32, 0x34f2, v21
	v_fmac_f16_e32 v34, 0x34f2, v31
	;; [unrolled: 1-line block ×4, first 2 shown]
	ds_store_b16 v26, v12
	ds_store_b16 v26, v32 offset:12
	ds_store_b16 v26, v34 offset:24
	;; [unrolled: 1-line block ×4, first 2 shown]
	s_and_saveexec_b32 s1, s0
	s_cbranch_execz .LBB0_33
; %bb.32:
	v_add_f16_e32 v12, v27, v30
	v_add_f16_e32 v18, v28, v29
	v_sub_f16_e32 v13, v28, v27
	v_sub_f16_e32 v16, v29, v30
	v_add_f16_e32 v32, v11, v27
	v_fma_f16 v12, -0.5, v12, v11
	v_sub_f16_e32 v21, v22, v24
	v_fma_f16 v11, -0.5, v18, v11
	v_sub_f16_e32 v17, v23, v25
	v_sub_f16_e32 v31, v27, v28
	;; [unrolled: 1-line block ×3, first 2 shown]
	v_add_f16_e32 v13, v13, v16
	v_add_f16_e32 v16, v32, v28
	v_and_b32_e32 v35, 0xffff, v20
	v_fmamk_f16 v32, v21, 0x3b9c, v11
	v_fmac_f16_e32 v11, 0xbb9c, v21
	v_fmamk_f16 v18, v17, 0xbb9c, v12
	v_fmac_f16_e32 v12, 0x3b9c, v17
	v_add_f16_e32 v31, v31, v34
	v_add_f16_e32 v16, v16, v29
	v_lshlrev_b32_e32 v34, 1, v35
	v_fmac_f16_e32 v11, 0xb8b4, v17
	v_fmac_f16_e32 v12, 0xb8b4, v21
	;; [unrolled: 1-line block ×4, first 2 shown]
	v_add_f16_e32 v16, v16, v30
	v_add3_u32 v17, 0, v19, v34
	v_fmac_f16_e32 v11, 0x34f2, v31
	v_fmac_f16_e32 v12, 0x34f2, v13
	;; [unrolled: 1-line block ×4, first 2 shown]
	ds_store_b16 v17, v16
	ds_store_b16 v17, v11 offset:12
	ds_store_b16 v17, v12 offset:24
	;; [unrolled: 1-line block ×4, first 2 shown]
.LBB0_33:
	s_wait_alu 0xfffe
	s_or_b32 exec_lo, exec_lo, s1
	v_add_f16_e32 v11, v36, v10
	v_add_f16_e32 v12, v15, v37
	v_add_f16_e32 v13, v37, v33
	v_lshl_add_u32 v9, v9, 1, 0
	v_sub_f16_e32 v31, v38, v41
	v_fma_f16 v34, -0.5, v11, v15
	v_add_f16_e32 v11, v12, v36
	v_sub_f16_e32 v35, v37, v36
	v_sub_f16_e32 v38, v33, v10
	v_fmac_f16_e32 v15, -0.5, v13
	v_sub_f16_e32 v36, v36, v37
	v_add_f16_e32 v37, v11, v10
	v_sub_f16_e32 v41, v10, v33
	global_wb scope:SCOPE_SE
	s_wait_dscnt 0x0
	s_barrier_signal -1
	s_barrier_wait -1
	global_inv scope:SCOPE_SE
	ds_load_u16 v16, v9
	v_lshl_add_u32 v10, v7, 1, 0
	ds_load_u16 v13, v0 offset:1680
	ds_load_u16 v12, v0 offset:2100
	;; [unrolled: 1-line block ×3, first 2 shown]
	ds_load_u16 v11, v0
	ds_load_u16 v21, v5
	ds_load_u16 v18, v10 offset:1260
	v_sub_f16_e32 v32, v39, v40
	v_fmamk_f16 v39, v31, 0x3b9c, v34
	v_fmac_f16_e32 v34, 0xbb9c, v31
	v_add_f16_e32 v35, v35, v38
	global_wb scope:SCOPE_SE
	s_wait_dscnt 0x0
	v_fmamk_f16 v40, v32, 0xbb9c, v15
	v_fmac_f16_e32 v15, 0x3b9c, v32
	v_fmac_f16_e32 v39, 0x38b4, v32
	;; [unrolled: 1-line block ×3, first 2 shown]
	v_add_f16_e32 v32, v36, v41
	v_fmac_f16_e32 v40, 0x38b4, v31
	v_fmac_f16_e32 v15, 0xb8b4, v31
	v_add_f16_e32 v31, v37, v33
	v_fmac_f16_e32 v39, 0x34f2, v35
	v_fmac_f16_e32 v34, 0x34f2, v35
	;; [unrolled: 1-line block ×4, first 2 shown]
	s_barrier_signal -1
	s_barrier_wait -1
	global_inv scope:SCOPE_SE
	ds_store_b16 v26, v31
	ds_store_b16 v26, v39 offset:12
	ds_store_b16 v26, v40 offset:24
	;; [unrolled: 1-line block ×4, first 2 shown]
	s_and_saveexec_b32 s1, s0
	s_cbranch_execz .LBB0_35
; %bb.34:
	v_add_f16_e32 v26, v23, v25
	v_sub_f16_e32 v28, v28, v29
	v_add_f16_e32 v29, v22, v24
	v_add_f16_e32 v15, v6, v22
	v_sub_f16_e32 v27, v27, v30
	v_fma_f16 v26, -0.5, v26, v6
	v_sub_f16_e32 v30, v22, v23
	v_sub_f16_e32 v31, v24, v25
	v_fmac_f16_e32 v6, -0.5, v29
	v_add_f16_e32 v15, v15, v23
	v_and_b32_e32 v20, 0xffff, v20
	v_fmamk_f16 v29, v27, 0x3b9c, v26
	v_add_f16_e32 v30, v30, v31
	v_fmamk_f16 v31, v28, 0xbb9c, v6
	v_sub_f16_e32 v22, v23, v22
	v_sub_f16_e32 v23, v25, v24
	v_fmac_f16_e32 v6, 0x3b9c, v28
	v_fmac_f16_e32 v26, 0xbb9c, v27
	v_add_f16_e32 v15, v15, v25
	v_lshlrev_b32_e32 v20, 1, v20
	v_fmac_f16_e32 v29, 0x38b4, v28
	v_fmac_f16_e32 v31, 0x38b4, v27
	v_add_f16_e32 v22, v22, v23
	v_fmac_f16_e32 v6, 0xb8b4, v27
	v_fmac_f16_e32 v26, 0xb8b4, v28
	v_add_f16_e32 v15, v15, v24
	v_add3_u32 v19, 0, v19, v20
	v_fmac_f16_e32 v29, 0x34f2, v30
	v_fmac_f16_e32 v31, 0x34f2, v22
	v_fmac_f16_e32 v6, 0x34f2, v22
	v_fmac_f16_e32 v26, 0x34f2, v30
	ds_store_b16 v19, v15
	ds_store_b16 v19, v29 offset:12
	ds_store_b16 v19, v31 offset:24
	;; [unrolled: 1-line block ×4, first 2 shown]
.LBB0_35:
	s_wait_alu 0xfffe
	s_or_b32 exec_lo, exec_lo, s1
	v_mul_lo_u16 v6, 0x89, v14
	global_wb scope:SCOPE_SE
	s_wait_dscnt 0x0
	s_barrier_signal -1
	s_barrier_wait -1
	global_inv scope:SCOPE_SE
	v_lshrrev_b16 v6, 12, v6
	s_delay_alu instid0(VALU_DEP_1) | instskip(SKIP_1) | instid1(VALU_DEP_2)
	v_mul_lo_u16 v14, v6, 30
	v_and_b32_e32 v6, 0xffff, v6
	v_sub_nc_u16 v14, v7, v14
	s_delay_alu instid0(VALU_DEP_2) | instskip(NEXT) | instid1(VALU_DEP_2)
	v_mul_u32_u24_e32 v6, 0x1a4, v6
	v_and_b32_e32 v19, 0xff, v14
	s_delay_alu instid0(VALU_DEP_1) | instskip(SKIP_1) | instid1(VALU_DEP_2)
	v_mul_u32_u24_e32 v14, 6, v19
	v_lshlrev_b32_e32 v19, 1, v19
	v_lshlrev_b32_e32 v14, 2, v14
	s_delay_alu instid0(VALU_DEP_2)
	v_add3_u32 v19, 0, v6, v19
	s_clause 0x1
	global_load_b128 v[22:25], v14, s[8:9] offset:112
	global_load_b64 v[14:15], v14, s[8:9] offset:128
	ds_load_u16 v20, v5
	ds_load_u16 v26, v9
	ds_load_u16 v27, v10 offset:1260
	ds_load_u16 v28, v0
	ds_load_u16 v29, v0 offset:1680
	ds_load_u16 v30, v0 offset:2100
	;; [unrolled: 1-line block ×3, first 2 shown]
	global_wb scope:SCOPE_SE
	s_wait_loadcnt_dscnt 0x0
	s_barrier_signal -1
	s_barrier_wait -1
	global_inv scope:SCOPE_SE
	v_lshrrev_b32_e32 v6, 16, v22
	v_lshrrev_b32_e32 v32, 16, v23
	;; [unrolled: 1-line block ×6, first 2 shown]
	v_mul_f16_e32 v37, v20, v6
	v_mul_f16_e32 v6, v21, v6
	;; [unrolled: 1-line block ×12, first 2 shown]
	v_fmac_f16_e32 v37, v21, v22
	v_fma_f16 v6, v20, v22, -v6
	v_fmac_f16_e32 v38, v16, v23
	v_fmac_f16_e32 v40, v13, v25
	;; [unrolled: 1-line block ×3, first 2 shown]
	v_fma_f16 v13, v31, v15, -v36
	v_fmac_f16_e32 v41, v12, v14
	v_fma_f16 v16, v26, v23, -v32
	v_fmac_f16_e32 v39, v18, v24
	v_fma_f16 v18, v27, v24, -v33
	v_fma_f16 v15, v29, v25, -v34
	;; [unrolled: 1-line block ×3, first 2 shown]
	v_add_f16_e32 v14, v37, v42
	v_add_f16_e32 v17, v6, v13
	v_sub_f16_e32 v6, v6, v13
	v_add_f16_e32 v13, v38, v41
	v_add_f16_e32 v21, v16, v12
	v_sub_f16_e32 v12, v16, v12
	;; [unrolled: 3-line block ×4, first 2 shown]
	v_sub_f16_e32 v27, v21, v17
	v_sub_f16_e32 v14, v14, v16
	;; [unrolled: 1-line block ×5, first 2 shown]
	v_add_f16_e32 v30, v15, v12
	v_sub_f16_e32 v32, v15, v12
	v_sub_f16_e32 v12, v12, v6
	v_add_f16_e32 v16, v16, v18
	v_sub_f16_e32 v15, v6, v15
	v_add_f16_e32 v18, v23, v25
	v_add_f16_e32 v6, v30, v6
	v_mul_f16_e32 v14, 0x3a52, v14
	v_mul_f16_e32 v17, 0x3a52, v17
	;; [unrolled: 1-line block ×5, first 2 shown]
	v_add_f16_e32 v11, v11, v16
	v_sub_f16_e32 v22, v38, v41
	v_sub_f16_e32 v24, v40, v39
	v_mul_f16_e32 v23, 0x2b26, v13
	v_fmamk_f16 v13, v13, 0x2b26, v14
	v_fmamk_f16 v21, v21, 0x2b26, v17
	v_fma_f16 v25, v27, 0x39e0, -v25
	v_fma_f16 v17, v27, 0xb9e0, -v17
	v_fmamk_f16 v27, v15, 0xb574, v30
	v_fma_f16 v12, v12, 0xbb00, -v30
	v_fma_f16 v15, v15, 0x3574, -v32
	v_fmamk_f16 v16, v16, 0xbcab, v11
	v_fma_f16 v14, v26, 0xb9e0, -v14
	v_sub_f16_e32 v20, v37, v42
	v_add_f16_e32 v29, v24, v22
	v_sub_f16_e32 v31, v24, v22
	v_fma_f16 v23, v26, 0x39e0, -v23
	v_fmac_f16_e32 v27, 0xb70e, v6
	v_fmac_f16_e32 v12, 0xb70e, v6
	;; [unrolled: 1-line block ×3, first 2 shown]
	v_add_f16_e32 v6, v13, v16
	v_add_f16_e32 v14, v14, v16
	v_sub_f16_e32 v24, v20, v24
	v_sub_f16_e32 v22, v22, v20
	v_add_f16_e32 v20, v29, v20
	v_mul_f16_e32 v29, 0x3846, v31
	v_add_f16_e32 v13, v23, v16
	v_add_f16_e32 v16, v27, v6
	;; [unrolled: 1-line block ×3, first 2 shown]
	v_mul_f16_e32 v31, 0xbb00, v22
	v_fmamk_f16 v26, v24, 0xb574, v29
	v_fma_f16 v22, v22, 0xbb00, -v29
	v_sub_f16_e32 v29, v13, v12
	v_add_f16_e32 v12, v12, v13
	v_sub_f16_e32 v13, v14, v15
	v_sub_f16_e32 v6, v6, v27
	ds_store_b16 v19, v11
	ds_store_b16 v19, v16 offset:60
	ds_store_b16 v19, v23 offset:120
	;; [unrolled: 1-line block ×6, first 2 shown]
	global_wb scope:SCOPE_SE
	s_wait_dscnt 0x0
	s_barrier_signal -1
	s_barrier_wait -1
	global_inv scope:SCOPE_SE
	ds_load_u16 v11, v9
	ds_load_u16 v12, v0 offset:1680
	ds_load_u16 v13, v0 offset:2100
	;; [unrolled: 1-line block ×3, first 2 shown]
	ds_load_u16 v6, v0
	ds_load_u16 v15, v5
	ds_load_u16 v16, v10 offset:1260
	v_add_f16_e32 v28, v28, v18
	v_fma_f16 v24, v24, 0x3574, -v31
	v_fmac_f16_e32 v26, 0xb70e, v20
	v_fmac_f16_e32 v22, 0xb70e, v20
	global_wb scope:SCOPE_SE
	s_wait_dscnt 0x0
	v_fmamk_f16 v18, v18, 0xbcab, v28
	v_fmac_f16_e32 v24, 0xb70e, v20
	s_barrier_signal -1
	s_barrier_wait -1
	global_inv scope:SCOPE_SE
	v_add_f16_e32 v20, v21, v18
	v_add_f16_e32 v17, v17, v18
	;; [unrolled: 1-line block ×3, first 2 shown]
	s_delay_alu instid0(VALU_DEP_3) | instskip(NEXT) | instid1(VALU_DEP_3)
	v_sub_f16_e32 v21, v20, v26
	v_sub_f16_e32 v25, v17, v24
	s_delay_alu instid0(VALU_DEP_3)
	v_add_f16_e32 v23, v22, v18
	v_sub_f16_e32 v18, v18, v22
	v_add_f16_e32 v17, v24, v17
	v_add_f16_e32 v20, v26, v20
	ds_store_b16 v19, v28
	ds_store_b16 v19, v21 offset:60
	ds_store_b16 v19, v25 offset:120
	;; [unrolled: 1-line block ×6, first 2 shown]
	global_wb scope:SCOPE_SE
	s_wait_dscnt 0x0
	s_barrier_signal -1
	s_barrier_wait -1
	global_inv scope:SCOPE_SE
	s_and_saveexec_b32 s0, vcc_lo
	s_cbranch_execz .LBB0_37
; %bb.36:
	v_mul_u32_u24_e32 v7, 6, v7
	v_add_nc_u32_e32 v38, 0x348, v8
	v_mul_lo_u32 v33, s2, v4
	v_add_nc_u32_e32 v35, 0xd2, v8
	v_add_nc_u32_e32 v36, 0x1a4, v8
	v_lshlrev_b32_e32 v7, 2, v7
	v_mad_co_u64_u32 v[29:30], null, s16, v38, 0
	v_add_nc_u32_e32 v39, 0x41a, v8
	v_add_nc_u32_e32 v37, 0x276, v8
	s_clause 0x1
	global_load_b128 v[17:20], v7, s[8:9] offset:832
	global_load_b64 v[21:22], v7, s[8:9] offset:848
	ds_load_u16 v40, v5
	ds_load_u16 v41, v10 offset:1260
	ds_load_u16 v42, v9
	ds_load_u16 v43, v0 offset:2520
	ds_load_u16 v44, v0 offset:2100
	;; [unrolled: 1-line block ×3, first 2 shown]
	ds_load_u16 v46, v0
	v_mad_co_u64_u32 v[9:10], null, s16, v8, 0
	v_mul_lo_u32 v7, s3, v3
	v_mad_co_u64_u32 v[3:4], null, s2, v3, 0
	v_lshlrev_b64_e32 v[0:1], 2, v[1:2]
	v_mad_co_u64_u32 v[23:24], null, s16, v35, 0
	v_mov_b32_e32 v2, v10
	v_mov_b32_e32 v10, v30
	v_mad_co_u64_u32 v[31:32], null, s16, v39, 0
	v_add_nc_u32_e32 v47, 0x4ec, v8
	v_add3_u32 v4, v4, v33, v7
	v_mad_co_u64_u32 v[25:26], null, s16, v36, 0
	v_mad_co_u64_u32 v[27:28], null, s16, v37, 0
	;; [unrolled: 1-line block ×3, first 2 shown]
	s_delay_alu instid0(VALU_DEP_4)
	v_lshlrev_b64_e32 v[2:3], 2, v[3:4]
	v_mov_b32_e32 v4, v24
	v_mov_b32_e32 v24, v32
	v_mad_co_u64_u32 v[33:34], null, s16, v47, 0
	v_dual_mov_b32 v5, v26 :: v_dual_mov_b32 v8, v28
	v_add_co_u32 v2, vcc_lo, s6, v2
	s_wait_alu 0xfffd
	v_add_co_ci_u32_e32 v3, vcc_lo, s7, v3, vcc_lo
	s_delay_alu instid0(VALU_DEP_4)
	v_mov_b32_e32 v26, v34
	v_mad_co_u64_u32 v[34:35], null, s17, v35, v[4:5]
	v_mad_co_u64_u32 v[4:5], null, s17, v36, v[5:6]
	;; [unrolled: 1-line block ×6, first 2 shown]
	v_mov_b32_e32 v10, v7
	v_mov_b32_e32 v24, v34
	;; [unrolled: 1-line block ×7, first 2 shown]
	v_add_co_u32 v39, vcc_lo, v2, v0
	s_wait_alu 0xfffd
	v_add_co_ci_u32_e32 v47, vcc_lo, v3, v1, vcc_lo
	v_lshlrev_b64_e32 v[0:1], 2, v[9:10]
	v_lshlrev_b64_e32 v[2:3], 2, v[23:24]
	;; [unrolled: 1-line block ×7, first 2 shown]
	v_add_co_u32 v0, vcc_lo, v39, v0
	s_wait_alu 0xfffd
	v_add_co_ci_u32_e32 v1, vcc_lo, v47, v1, vcc_lo
	v_add_co_u32 v2, vcc_lo, v39, v2
	s_wait_alu 0xfffd
	v_add_co_ci_u32_e32 v3, vcc_lo, v47, v3, vcc_lo
	;; [unrolled: 3-line block ×7, first 2 shown]
	s_wait_loadcnt 0x1
	v_lshrrev_b32_e32 v27, 16, v17
	v_lshrrev_b32_e32 v28, 16, v18
	;; [unrolled: 1-line block ×4, first 2 shown]
	v_mul_f16_e32 v31, v15, v17
	s_wait_loadcnt 0x0
	v_lshrrev_b32_e32 v32, 16, v21
	v_lshrrev_b32_e32 v33, 16, v22
	v_mul_f16_e32 v34, v14, v22
	v_mul_f16_e32 v35, v12, v20
	;; [unrolled: 1-line block ×5, first 2 shown]
	s_wait_dscnt 0x6
	v_fmac_f16_e32 v31, v40, v27
	s_wait_dscnt 0x3
	v_fmac_f16_e32 v34, v43, v33
	;; [unrolled: 2-line block ×3, first 2 shown]
	v_fmac_f16_e32 v36, v41, v29
	v_fmac_f16_e32 v37, v42, v28
	;; [unrolled: 1-line block ×3, first 2 shown]
	v_mul_f16_e32 v14, v14, v33
	v_mul_f16_e32 v15, v15, v27
	;; [unrolled: 1-line block ×6, first 2 shown]
	v_sub_f16_e32 v27, v31, v34
	v_sub_f16_e32 v28, v35, v36
	v_sub_f16_e32 v29, v37, v38
	v_fma_f16 v14, v43, v22, -v14
	v_fma_f16 v15, v40, v17, -v15
	;; [unrolled: 1-line block ×6, first 2 shown]
	v_add_f16_e32 v17, v31, v34
	v_add_f16_e32 v18, v35, v36
	;; [unrolled: 1-line block ×3, first 2 shown]
	v_sub_f16_e32 v20, v27, v28
	v_sub_f16_e32 v21, v28, v29
	v_add_f16_e32 v22, v28, v29
	v_add_f16_e32 v28, v15, v14
	;; [unrolled: 1-line block ×4, first 2 shown]
	v_sub_f16_e32 v32, v17, v18
	v_sub_f16_e32 v33, v18, v19
	v_add_f16_e32 v34, v17, v19
	v_sub_f16_e32 v14, v15, v14
	v_sub_f16_e32 v12, v12, v16
	v_sub_f16_e32 v11, v11, v13
	v_sub_f16_e32 v13, v29, v27
	v_sub_f16_e32 v15, v19, v17
	v_mul_f16_e32 v16, 0x3846, v21
	v_add_f16_e32 v17, v27, v22
	v_sub_f16_e32 v21, v30, v31
	v_add_f16_e32 v22, v28, v31
	v_sub_f16_e32 v19, v28, v30
	v_mul_f16_e32 v27, 0x3a52, v32
	v_mul_f16_e32 v29, 0x2b26, v33
	v_add_f16_e32 v18, v18, v34
	v_sub_f16_e32 v33, v14, v12
	v_sub_f16_e32 v34, v12, v11
	v_add_f16_e32 v12, v12, v11
	v_mul_f16_e32 v35, 0xbb00, v13
	v_sub_f16_e32 v11, v11, v14
	v_mul_f16_e32 v21, 0x2b26, v21
	v_add_f16_e32 v22, v30, v22
	v_sub_f16_e32 v28, v31, v28
	v_fmamk_f16 v31, v20, 0xb574, v16
	v_mul_f16_e32 v36, 0x3a52, v19
	v_fmamk_f16 v30, v32, 0x3a52, v29
	v_add_f16_e32 v6, v6, v18
	v_mul_f16_e32 v32, 0x3846, v34
	v_add_f16_e32 v12, v14, v12
	v_fma_f16 v14, v20, 0x3574, -v35
	v_fma_f16 v20, v15, 0xb9e0, -v27
	v_mul_f16_e32 v27, 0xbb00, v11
	v_fma_f16 v13, v13, 0xbb00, -v16
	v_fmamk_f16 v16, v19, 0x3a52, v21
	s_wait_dscnt 0x0
	v_add_f16_e32 v19, v46, v22
	v_fma_f16 v15, v15, 0x39e0, -v29
	v_fmac_f16_e32 v31, 0xb70e, v17
	v_fmamk_f16 v18, v18, 0xbcab, v6
	v_fmamk_f16 v29, v33, 0xb574, v32
	v_fmac_f16_e32 v14, 0xb70e, v17
	v_fma_f16 v27, v33, 0x3574, -v27
	v_fmac_f16_e32 v13, 0xb70e, v17
	v_fma_f16 v11, v11, 0xbb00, -v32
	v_fmamk_f16 v17, v22, 0xbcab, v19
	v_fma_f16 v34, v28, 0xb9e0, -v36
	v_fma_f16 v21, v28, 0x39e0, -v21
	v_add_f16_e32 v22, v30, v18
	v_fmac_f16_e32 v29, 0xb70e, v12
	v_add_f16_e32 v20, v20, v18
	v_fmac_f16_e32 v27, 0xb70e, v12
	v_fmac_f16_e32 v11, 0xb70e, v12
	v_add_f16_e32 v12, v15, v18
	v_pack_b32_f16 v6, v6, v19
	v_add_f16_e32 v15, v16, v17
	v_add_f16_e32 v18, v34, v17
	;; [unrolled: 1-line block ×3, first 2 shown]
	v_sub_f16_e32 v19, v20, v27
	v_add_f16_e32 v21, v11, v12
	v_sub_f16_e32 v11, v12, v11
	v_add_f16_e32 v12, v27, v20
	v_add_f16_e32 v20, v29, v22
	global_store_b32 v[0:1], v6, off
	v_sub_f16_e32 v1, v15, v31
	v_sub_f16_e32 v6, v18, v14
	v_add_f16_e32 v0, v31, v15
	v_add_f16_e32 v15, v13, v17
	v_sub_f16_e32 v13, v17, v13
	v_add_f16_e32 v14, v14, v18
	v_sub_f16_e32 v16, v22, v29
	v_pack_b32_f16 v1, v20, v1
	v_pack_b32_f16 v6, v12, v6
	;; [unrolled: 1-line block ×6, first 2 shown]
	s_clause 0x5
	global_store_b32 v[2:3], v1, off
	global_store_b32 v[4:5], v6, off
	;; [unrolled: 1-line block ×6, first 2 shown]
.LBB0_37:
	s_nop 0
	s_sendmsg sendmsg(MSG_DEALLOC_VGPRS)
	s_endpgm
	.section	.rodata,"a",@progbits
	.p2align	6, 0x0
	.amdhsa_kernel fft_rtc_back_len1470_factors_2_3_5_7_7_wgs_210_tpt_210_halfLds_half_op_CI_CI_sbrr_dirReg
		.amdhsa_group_segment_fixed_size 0
		.amdhsa_private_segment_fixed_size 0
		.amdhsa_kernarg_size 104
		.amdhsa_user_sgpr_count 2
		.amdhsa_user_sgpr_dispatch_ptr 0
		.amdhsa_user_sgpr_queue_ptr 0
		.amdhsa_user_sgpr_kernarg_segment_ptr 1
		.amdhsa_user_sgpr_dispatch_id 0
		.amdhsa_user_sgpr_private_segment_size 0
		.amdhsa_wavefront_size32 1
		.amdhsa_uses_dynamic_stack 0
		.amdhsa_enable_private_segment 0
		.amdhsa_system_sgpr_workgroup_id_x 1
		.amdhsa_system_sgpr_workgroup_id_y 0
		.amdhsa_system_sgpr_workgroup_id_z 0
		.amdhsa_system_sgpr_workgroup_info 0
		.amdhsa_system_vgpr_workitem_id 0
		.amdhsa_next_free_vgpr 57
		.amdhsa_next_free_sgpr 43
		.amdhsa_reserve_vcc 1
		.amdhsa_float_round_mode_32 0
		.amdhsa_float_round_mode_16_64 0
		.amdhsa_float_denorm_mode_32 3
		.amdhsa_float_denorm_mode_16_64 3
		.amdhsa_fp16_overflow 0
		.amdhsa_workgroup_processor_mode 1
		.amdhsa_memory_ordered 1
		.amdhsa_forward_progress 0
		.amdhsa_round_robin_scheduling 0
		.amdhsa_exception_fp_ieee_invalid_op 0
		.amdhsa_exception_fp_denorm_src 0
		.amdhsa_exception_fp_ieee_div_zero 0
		.amdhsa_exception_fp_ieee_overflow 0
		.amdhsa_exception_fp_ieee_underflow 0
		.amdhsa_exception_fp_ieee_inexact 0
		.amdhsa_exception_int_div_zero 0
	.end_amdhsa_kernel
	.text
.Lfunc_end0:
	.size	fft_rtc_back_len1470_factors_2_3_5_7_7_wgs_210_tpt_210_halfLds_half_op_CI_CI_sbrr_dirReg, .Lfunc_end0-fft_rtc_back_len1470_factors_2_3_5_7_7_wgs_210_tpt_210_halfLds_half_op_CI_CI_sbrr_dirReg
                                        ; -- End function
	.section	.AMDGPU.csdata,"",@progbits
; Kernel info:
; codeLenInByte = 7772
; NumSgprs: 45
; NumVgprs: 57
; ScratchSize: 0
; MemoryBound: 0
; FloatMode: 240
; IeeeMode: 1
; LDSByteSize: 0 bytes/workgroup (compile time only)
; SGPRBlocks: 5
; VGPRBlocks: 7
; NumSGPRsForWavesPerEU: 45
; NumVGPRsForWavesPerEU: 57
; Occupancy: 16
; WaveLimiterHint : 1
; COMPUTE_PGM_RSRC2:SCRATCH_EN: 0
; COMPUTE_PGM_RSRC2:USER_SGPR: 2
; COMPUTE_PGM_RSRC2:TRAP_HANDLER: 0
; COMPUTE_PGM_RSRC2:TGID_X_EN: 1
; COMPUTE_PGM_RSRC2:TGID_Y_EN: 0
; COMPUTE_PGM_RSRC2:TGID_Z_EN: 0
; COMPUTE_PGM_RSRC2:TIDIG_COMP_CNT: 0
	.text
	.p2alignl 7, 3214868480
	.fill 96, 4, 3214868480
	.type	__hip_cuid_b0a5210bb6b73dcc,@object ; @__hip_cuid_b0a5210bb6b73dcc
	.section	.bss,"aw",@nobits
	.globl	__hip_cuid_b0a5210bb6b73dcc
__hip_cuid_b0a5210bb6b73dcc:
	.byte	0                               ; 0x0
	.size	__hip_cuid_b0a5210bb6b73dcc, 1

	.ident	"AMD clang version 19.0.0git (https://github.com/RadeonOpenCompute/llvm-project roc-6.4.0 25133 c7fe45cf4b819c5991fe208aaa96edf142730f1d)"
	.section	".note.GNU-stack","",@progbits
	.addrsig
	.addrsig_sym __hip_cuid_b0a5210bb6b73dcc
	.amdgpu_metadata
---
amdhsa.kernels:
  - .args:
      - .actual_access:  read_only
        .address_space:  global
        .offset:         0
        .size:           8
        .value_kind:     global_buffer
      - .offset:         8
        .size:           8
        .value_kind:     by_value
      - .actual_access:  read_only
        .address_space:  global
        .offset:         16
        .size:           8
        .value_kind:     global_buffer
      - .actual_access:  read_only
        .address_space:  global
        .offset:         24
        .size:           8
        .value_kind:     global_buffer
      - .actual_access:  read_only
        .address_space:  global
        .offset:         32
        .size:           8
        .value_kind:     global_buffer
      - .offset:         40
        .size:           8
        .value_kind:     by_value
      - .actual_access:  read_only
        .address_space:  global
        .offset:         48
        .size:           8
        .value_kind:     global_buffer
      - .actual_access:  read_only
        .address_space:  global
        .offset:         56
        .size:           8
        .value_kind:     global_buffer
      - .offset:         64
        .size:           4
        .value_kind:     by_value
      - .actual_access:  read_only
        .address_space:  global
        .offset:         72
        .size:           8
        .value_kind:     global_buffer
      - .actual_access:  read_only
        .address_space:  global
        .offset:         80
        .size:           8
        .value_kind:     global_buffer
      - .actual_access:  read_only
        .address_space:  global
        .offset:         88
        .size:           8
        .value_kind:     global_buffer
      - .actual_access:  write_only
        .address_space:  global
        .offset:         96
        .size:           8
        .value_kind:     global_buffer
    .group_segment_fixed_size: 0
    .kernarg_segment_align: 8
    .kernarg_segment_size: 104
    .language:       OpenCL C
    .language_version:
      - 2
      - 0
    .max_flat_workgroup_size: 210
    .name:           fft_rtc_back_len1470_factors_2_3_5_7_7_wgs_210_tpt_210_halfLds_half_op_CI_CI_sbrr_dirReg
    .private_segment_fixed_size: 0
    .sgpr_count:     45
    .sgpr_spill_count: 0
    .symbol:         fft_rtc_back_len1470_factors_2_3_5_7_7_wgs_210_tpt_210_halfLds_half_op_CI_CI_sbrr_dirReg.kd
    .uniform_work_group_size: 1
    .uses_dynamic_stack: false
    .vgpr_count:     57
    .vgpr_spill_count: 0
    .wavefront_size: 32
    .workgroup_processor_mode: 1
amdhsa.target:   amdgcn-amd-amdhsa--gfx1201
amdhsa.version:
  - 1
  - 2
...

	.end_amdgpu_metadata
